;; amdgpu-corpus repo=ROCm/rocFFT kind=compiled arch=gfx1201 opt=O3
	.text
	.amdgcn_target "amdgcn-amd-amdhsa--gfx1201"
	.amdhsa_code_object_version 6
	.protected	bluestein_single_fwd_len231_dim1_dp_op_CI_CI ; -- Begin function bluestein_single_fwd_len231_dim1_dp_op_CI_CI
	.globl	bluestein_single_fwd_len231_dim1_dp_op_CI_CI
	.p2align	8
	.type	bluestein_single_fwd_len231_dim1_dp_op_CI_CI,@function
bluestein_single_fwd_len231_dim1_dp_op_CI_CI: ; @bluestein_single_fwd_len231_dim1_dp_op_CI_CI
; %bb.0:
	s_load_b128 s[8:11], s[0:1], 0x28
	v_mul_u32_u24_e32 v1, 0x7c2, v0
	s_mov_b32 s2, exec_lo
	s_delay_alu instid0(VALU_DEP_1) | instskip(NEXT) | instid1(VALU_DEP_1)
	v_lshrrev_b32_e32 v1, 16, v1
	v_mad_co_u64_u32 v[100:101], null, ttmp9, 7, v[1:2]
	v_mov_b32_e32 v101, 0
	s_wait_kmcnt 0x0
	s_delay_alu instid0(VALU_DEP_1)
	v_cmpx_gt_u64_e64 s[8:9], v[100:101]
	s_cbranch_execz .LBB0_23
; %bb.1:
	v_mul_hi_u32 v2, 0x24924925, v100
	v_mul_lo_u16 v1, v1, 33
	s_clause 0x1
	s_load_b64 s[12:13], s[0:1], 0x0
	s_load_b64 s[8:9], s[0:1], 0x38
	s_delay_alu instid0(VALU_DEP_1) | instskip(NEXT) | instid1(VALU_DEP_3)
	v_sub_nc_u16 v0, v0, v1
	v_sub_nc_u32_e32 v3, v100, v2
	s_delay_alu instid0(VALU_DEP_2) | instskip(SKIP_1) | instid1(VALU_DEP_3)
	v_and_b32_e32 v181, 0xffff, v0
	v_cmp_gt_u16_e32 vcc_lo, 21, v0
	v_lshrrev_b32_e32 v3, 1, v3
	s_delay_alu instid0(VALU_DEP_3) | instskip(NEXT) | instid1(VALU_DEP_2)
	v_lshlrev_b32_e32 v182, 4, v181
	v_add_nc_u32_e32 v2, v3, v2
	s_delay_alu instid0(VALU_DEP_1) | instskip(NEXT) | instid1(VALU_DEP_1)
	v_lshrrev_b32_e32 v2, 2, v2
	v_mul_lo_u32 v2, v2, 7
	s_delay_alu instid0(VALU_DEP_1) | instskip(NEXT) | instid1(VALU_DEP_1)
	v_sub_nc_u32_e32 v1, v100, v2
	v_mul_u32_u24_e32 v183, 0xe7, v1
	s_delay_alu instid0(VALU_DEP_1)
	v_lshlrev_b32_e32 v184, 4, v183
	s_and_saveexec_b32 s3, vcc_lo
	s_cbranch_execz .LBB0_3
; %bb.2:
	s_load_b64 s[4:5], s[0:1], 0x18
	s_wait_kmcnt 0x0
	s_load_b128 s[4:7], s[4:5], 0x0
	s_wait_kmcnt 0x0
	v_mad_co_u64_u32 v[8:9], null, s4, v181, 0
	v_mad_co_u64_u32 v[0:1], null, s6, v100, 0
	s_delay_alu instid0(VALU_DEP_2) | instskip(NEXT) | instid1(VALU_DEP_1)
	v_mov_b32_e32 v2, v9
	v_mad_co_u64_u32 v[3:4], null, s7, v100, v[1:2]
	s_delay_alu instid0(VALU_DEP_1) | instskip(SKIP_2) | instid1(VALU_DEP_2)
	v_mov_b32_e32 v1, v3
	v_mad_co_u64_u32 v[4:5], null, s5, v181, v[2:3]
	s_mul_u64 s[4:5], s[4:5], 0x150
	v_lshlrev_b64_e32 v[10:11], 4, v[0:1]
	s_delay_alu instid0(VALU_DEP_2) | instskip(SKIP_4) | instid1(VALU_DEP_1)
	v_mov_b32_e32 v9, v4
	s_clause 0x1
	global_load_b128 v[0:3], v182, s[12:13]
	global_load_b128 v[4:7], v182, s[12:13] offset:336
	v_add_co_u32 v18, s2, s10, v10
	v_add_co_ci_u32_e64 v19, s2, s11, v11, s2
	v_lshlrev_b64_e32 v[16:17], 4, v[8:9]
	s_clause 0x1
	global_load_b128 v[8:11], v182, s[12:13] offset:672
	global_load_b128 v[12:15], v182, s[12:13] offset:1008
	v_add_co_u32 v32, s2, v18, v16
	s_wait_alu 0xf1ff
	v_add_co_ci_u32_e64 v33, s2, v19, v17, s2
	s_clause 0x1
	global_load_b128 v[16:19], v182, s[12:13] offset:1344
	global_load_b128 v[20:23], v182, s[12:13] offset:1680
	s_wait_alu 0xfffe
	v_add_co_u32 v36, s2, v32, s4
	s_wait_alu 0xf1ff
	v_add_co_ci_u32_e64 v37, s2, s5, v33, s2
	s_clause 0x1
	global_load_b128 v[24:27], v182, s[12:13] offset:2016
	global_load_b128 v[28:31], v182, s[12:13] offset:2352
	v_add_co_u32 v40, s2, v36, s4
	s_wait_alu 0xf1ff
	v_add_co_ci_u32_e64 v41, s2, s5, v37, s2
	s_clause 0x1
	global_load_b128 v[32:35], v[32:33], off
	global_load_b128 v[36:39], v[36:37], off
	v_add_co_u32 v44, s2, v40, s4
	s_wait_alu 0xf1ff
	v_add_co_ci_u32_e64 v45, s2, s5, v41, s2
	s_delay_alu instid0(VALU_DEP_2) | instskip(SKIP_1) | instid1(VALU_DEP_2)
	v_add_co_u32 v48, s2, v44, s4
	s_wait_alu 0xf1ff
	v_add_co_ci_u32_e64 v49, s2, s5, v45, s2
	s_clause 0x1
	global_load_b128 v[40:43], v[40:41], off
	global_load_b128 v[44:47], v[44:45], off
	v_add_co_u32 v52, s2, v48, s4
	s_wait_alu 0xf1ff
	v_add_co_ci_u32_e64 v53, s2, s5, v49, s2
	global_load_b128 v[48:51], v[48:49], off
	v_add_co_u32 v56, s2, v52, s4
	s_wait_alu 0xf1ff
	v_add_co_ci_u32_e64 v57, s2, s5, v53, s2
	;; [unrolled: 4-line block ×6, first 2 shown]
	s_clause 0x1
	global_load_b128 v[68:71], v182, s[12:13] offset:2688
	global_load_b128 v[72:75], v182, s[12:13] offset:3024
	global_load_b128 v[76:79], v[76:77], off
	global_load_b128 v[80:83], v182, s[12:13] offset:3360
	global_load_b128 v[84:87], v[84:85], off
	s_wait_loadcnt 0xd
	v_mul_f64_e32 v[88:89], v[34:35], v[2:3]
	v_mul_f64_e32 v[2:3], v[32:33], v[2:3]
	s_wait_loadcnt 0xc
	v_mul_f64_e32 v[90:91], v[38:39], v[6:7]
	v_mul_f64_e32 v[6:7], v[36:37], v[6:7]
	;; [unrolled: 3-line block ×11, first 2 shown]
	v_fma_f64 v[30:31], v[32:33], v[0:1], v[88:89]
	v_fma_f64 v[32:33], v[34:35], v[0:1], -v[2:3]
	v_fma_f64 v[0:1], v[36:37], v[4:5], v[90:91]
	v_fma_f64 v[2:3], v[38:39], v[4:5], -v[6:7]
	;; [unrolled: 2-line block ×8, first 2 shown]
	v_lshl_add_u32 v28, v181, 4, v184
	v_add_nc_u32_e32 v29, v184, v182
	v_fma_f64 v[34:35], v[64:65], v[68:69], v[107:108]
	v_fma_f64 v[36:37], v[66:67], v[68:69], -v[70:71]
	v_fma_f64 v[38:39], v[76:77], v[72:73], v[109:110]
	v_fma_f64 v[40:41], v[78:79], v[72:73], -v[74:75]
	;; [unrolled: 2-line block ×3, first 2 shown]
	ds_store_b128 v28, v[30:33]
	ds_store_b128 v29, v[0:3] offset:336
	ds_store_b128 v29, v[4:7] offset:672
	;; [unrolled: 1-line block ×10, first 2 shown]
.LBB0_3:
	s_or_b32 exec_lo, exec_lo, s3
	s_clause 0x1
	s_load_b64 s[4:5], s[0:1], 0x20
	s_load_b64 s[2:3], s[0:1], 0x8
	global_wb scope:SCOPE_SE
	s_wait_dscnt 0x0
	s_wait_kmcnt 0x0
	s_barrier_signal -1
	s_barrier_wait -1
	global_inv scope:SCOPE_SE
                                        ; implicit-def: $vgpr8_vgpr9
                                        ; implicit-def: $vgpr36_vgpr37
                                        ; implicit-def: $vgpr40_vgpr41
                                        ; implicit-def: $vgpr44_vgpr45
                                        ; implicit-def: $vgpr48_vgpr49
                                        ; implicit-def: $vgpr32_vgpr33
                                        ; implicit-def: $vgpr28_vgpr29
                                        ; implicit-def: $vgpr24_vgpr25
                                        ; implicit-def: $vgpr20_vgpr21
                                        ; implicit-def: $vgpr16_vgpr17
                                        ; implicit-def: $vgpr12_vgpr13
	s_and_saveexec_b32 s0, vcc_lo
	s_cbranch_execz .LBB0_5
; %bb.4:
	v_lshl_add_u32 v0, v183, 4, v182
	ds_load_b128 v[8:11], v0
	ds_load_b128 v[36:39], v0 offset:336
	ds_load_b128 v[40:43], v0 offset:672
	;; [unrolled: 1-line block ×10, first 2 shown]
.LBB0_5:
	s_wait_alu 0xfffe
	s_or_b32 exec_lo, exec_lo, s0
	s_wait_dscnt 0x0
	v_add_f64_e64 v[66:67], v[38:39], -v[14:15]
	v_add_f64_e64 v[54:55], v[36:37], -v[12:13]
	s_mov_b32 s6, 0xf8bb580b
	s_mov_b32 s0, 0x8eee2c13
	;; [unrolled: 1-line block ×8, first 2 shown]
	v_add_f64_e32 v[52:53], v[36:37], v[12:13]
	v_add_f64_e32 v[64:65], v[38:39], v[14:15]
	v_add_f64_e64 v[70:71], v[42:43], -v[18:19]
	v_add_f64_e64 v[68:69], v[40:41], -v[16:17]
	s_mov_b32 s22, 0x8764f0ba
	s_mov_b32 s20, 0xd9c712b6
	;; [unrolled: 1-line block ×11, first 2 shown]
	s_wait_alu 0xfffe
	s_mov_b32 s18, s10
	v_add_f64_e32 v[141:142], v[40:41], v[16:17]
	v_add_f64_e32 v[179:180], v[42:43], v[18:19]
	v_add_f64_e64 v[165:166], v[46:47], -v[22:23]
	v_add_f64_e64 v[84:85], v[44:45], -v[20:21]
	s_mov_b32 s28, 0x9bcd5057
	s_mov_b32 s29, 0xbfeeb42a
	;; [unrolled: 1-line block ×4, first 2 shown]
	v_add_f64_e32 v[94:95], v[44:45], v[20:21]
	v_add_f64_e32 v[177:178], v[46:47], v[22:23]
	v_add_f64_e64 v[80:81], v[48:49], -v[24:25]
	v_add_f64_e64 v[129:130], v[50:51], -v[26:27]
	v_mul_f64_e32 v[72:73], s[6:7], v[66:67]
	v_mul_f64_e32 v[74:75], s[6:7], v[54:55]
	;; [unrolled: 1-line block ×8, first 2 shown]
	s_mov_b32 s35, 0xbfd207e7
	s_mov_b32 s34, s30
	v_add_f64_e32 v[90:91], v[48:49], v[24:25]
	v_add_f64_e32 v[173:174], v[50:51], v[26:27]
	v_mul_f64_e32 v[145:146], s[0:1], v[70:71]
	v_mul_f64_e32 v[151:152], s[0:1], v[68:69]
	;; [unrolled: 1-line block ×8, first 2 shown]
	v_add_f64_e64 v[82:83], v[32:33], -v[28:29]
	v_add_f64_e64 v[115:116], v[34:35], -v[30:31]
	s_mov_b32 s37, 0x3fe14ced
	s_mov_b32 s36, s6
	v_add_f64_e32 v[171:172], v[34:35], v[30:31]
	global_wb scope:SCOPE_SE
	s_barrier_signal -1
	s_barrier_wait -1
	v_mul_f64_e32 v[88:89], s[10:11], v[165:166]
	v_mul_f64_e32 v[98:99], s[10:11], v[84:85]
	;; [unrolled: 1-line block ×10, first 2 shown]
	v_fma_f64 v[0:1], v[52:53], s[22:23], v[72:73]
	v_fma_f64 v[2:3], v[64:65], s[22:23], -v[74:75]
	v_fma_f64 v[4:5], v[52:53], s[20:21], v[76:77]
	v_fma_f64 v[6:7], v[64:65], s[20:21], -v[78:79]
	v_fma_f64 v[56:57], v[52:53], s[16:17], v[96:97]
	v_fma_f64 v[58:59], v[64:65], s[16:17], -v[135:136]
	v_fma_f64 v[60:61], v[52:53], s[24:25], v[169:170]
	v_fma_f64 v[62:63], v[64:65], s[24:25], -v[175:176]
	v_mul_f64_e32 v[101:102], s[18:19], v[129:130]
	v_mul_f64_e32 v[105:106], s[18:19], v[80:81]
	;; [unrolled: 1-line block ×4, first 2 shown]
	v_fma_f64 v[107:108], v[141:142], s[20:21], v[145:146]
	v_fma_f64 v[113:114], v[179:180], s[20:21], -v[151:152]
	v_fma_f64 v[121:122], v[141:142], s[24:25], v[153:154]
	v_fma_f64 v[123:124], v[179:180], s[24:25], -v[157:158]
	;; [unrolled: 2-line block ×4, first 2 shown]
	v_mul_f64_e32 v[131:132], s[34:35], v[129:130]
	v_mul_f64_e32 v[143:144], s[34:35], v[80:81]
	;; [unrolled: 1-line block ×3, first 2 shown]
	global_inv scope:SCOPE_SE
	v_fma_f64 v[185:186], v[94:95], s[16:17], v[88:89]
	v_fma_f64 v[187:188], v[177:178], s[16:17], -v[98:99]
	v_fma_f64 v[189:190], v[94:95], s[28:29], v[103:104]
	v_fma_f64 v[191:192], v[177:178], s[28:29], -v[109:110]
	;; [unrolled: 2-line block ×4, first 2 shown]
	v_fma_f64 v[203:204], v[173:174], s[24:25], -v[92:93]
	v_fma_f64 v[201:202], v[90:91], s[24:25], v[86:87]
	v_add_f64_e32 v[0:1], v[8:9], v[0:1]
	v_add_f64_e32 v[2:3], v[10:11], v[2:3]
	;; [unrolled: 1-line block ×8, first 2 shown]
	v_fma_f64 v[205:206], v[90:91], s[16:17], v[101:102]
	v_fma_f64 v[207:208], v[173:174], s[16:17], -v[105:106]
	v_fma_f64 v[209:210], v[90:91], s[22:23], v[111:112]
	v_fma_f64 v[211:212], v[173:174], s[22:23], -v[119:120]
	;; [unrolled: 2-line block ×3, first 2 shown]
	v_add_f64_e32 v[0:1], v[107:108], v[0:1]
	v_add_f64_e32 v[2:3], v[113:114], v[2:3]
	;; [unrolled: 1-line block ×9, first 2 shown]
	v_mul_f64_e32 v[107:108], s[34:35], v[115:116]
	v_mul_f64_e32 v[113:114], s[34:35], v[82:83]
	;; [unrolled: 1-line block ×7, first 2 shown]
	v_add_f64_e32 v[0:1], v[185:186], v[0:1]
	v_add_f64_e32 v[2:3], v[187:188], v[2:3]
	;; [unrolled: 1-line block ×8, first 2 shown]
	v_fma_f64 v[199:200], v[171:172], s[20:21], -v[155:156]
	v_fma_f64 v[185:186], v[121:122], s[28:29], v[107:108]
	v_fma_f64 v[187:188], v[171:172], s[28:29], -v[113:114]
	v_fma_f64 v[189:190], v[121:122], s[22:23], v[123:124]
	;; [unrolled: 2-line block ×4, first 2 shown]
	v_add_f64_e32 v[0:1], v[201:202], v[0:1]
	v_add_f64_e32 v[2:3], v[203:204], v[2:3]
	v_add_f64_e32 v[4:5], v[205:206], v[4:5]
	v_add_f64_e32 v[6:7], v[207:208], v[6:7]
	v_add_f64_e32 v[56:57], v[209:210], v[56:57]
	v_add_f64_e32 v[58:59], v[211:212], v[58:59]
	v_add_f64_e32 v[201:202], v[213:214], v[60:61]
	v_add_f64_e32 v[203:204], v[215:216], v[62:63]
	v_add_f64_e32 v[0:1], v[185:186], v[0:1]
	v_add_f64_e32 v[2:3], v[187:188], v[2:3]
	v_add_f64_e32 v[4:5], v[189:190], v[4:5]
	v_add_f64_e32 v[6:7], v[191:192], v[6:7]
	v_add_f64_e32 v[60:61], v[193:194], v[56:57]
	v_add_f64_e32 v[62:63], v[195:196], v[58:59]
	v_add_f64_e32 v[56:57], v[197:198], v[201:202]
	v_add_f64_e32 v[58:59], v[199:200], v[203:204]
	v_mul_lo_u16 v185, v181, 11
	s_and_saveexec_b32 s33, vcc_lo
	s_cbranch_execz .LBB0_7
; %bb.6:
	v_add_f64_e32 v[38:39], v[10:11], v[38:39]
	v_add_f64_e32 v[36:37], v[8:9], v[36:37]
	v_mul_f64_e32 v[186:187], s[20:21], v[52:53]
	v_mul_f64_e32 v[188:189], s[16:17], v[52:53]
	v_mul_f64_e32 v[190:191], s[24:25], v[52:53]
	v_mul_f64_e32 v[70:71], s[36:37], v[70:71]
	v_mul_f64_e32 v[192:193], s[16:17], v[179:180]
	v_mul_f64_e32 v[196:197], s[28:29], v[179:180]
	v_mul_f64_e32 v[200:201], s[24:25], v[179:180]
	v_mul_f64_e32 v[202:203], s[24:25], v[141:142]
	v_mul_f64_e32 v[198:199], s[28:29], v[141:142]
	v_mul_f64_e32 v[194:195], s[16:17], v[141:142]
	v_mul_f64_e32 v[204:205], s[20:21], v[141:142]
	v_mul_f64_e32 v[129:130], s[26:27], v[129:130]
	v_mul_f64_e32 v[115:116], s[10:11], v[115:116]
	v_add_f64_e32 v[38:39], v[38:39], v[42:43]
	v_add_f64_e32 v[36:37], v[36:37], v[40:41]
	v_mul_f64_e32 v[40:41], s[28:29], v[64:65]
	v_mul_f64_e32 v[42:43], s[34:35], v[66:67]
	;; [unrolled: 1-line block ×3, first 2 shown]
	v_add_f64_e32 v[161:162], v[161:162], v[196:197]
	v_add_f64_e32 v[157:158], v[157:158], v[200:201]
	v_add_f64_e64 v[153:154], v[202:203], -v[153:154]
	v_add_f64_e64 v[159:160], v[198:199], -v[159:160]
	;; [unrolled: 1-line block ×4, first 2 shown]
	v_add_f64_e32 v[38:39], v[38:39], v[46:47]
	v_add_f64_e32 v[36:37], v[36:37], v[44:45]
	v_mul_f64_e32 v[46:47], s[16:17], v[64:65]
	v_mul_f64_e32 v[44:45], s[24:25], v[64:65]
	;; [unrolled: 1-line block ×3, first 2 shown]
	v_fma_f64 v[206:207], v[54:55], s[30:31], v[40:41]
	v_fma_f64 v[208:209], v[52:53], s[28:29], v[42:43]
	;; [unrolled: 1-line block ×3, first 2 shown]
	v_add_f64_e32 v[54:55], v[78:79], v[66:67]
	v_add_f64_e64 v[66:67], v[186:187], -v[76:77]
	v_add_f64_e64 v[76:77], v[188:189], -v[96:97]
	;; [unrolled: 1-line block ×3, first 2 shown]
	v_fma_f64 v[42:43], v[52:53], s[28:29], -v[42:43]
	v_mul_f64_e32 v[96:97], s[22:23], v[177:178]
	v_mul_f64_e32 v[169:170], s[20:21], v[94:95]
	;; [unrolled: 1-line block ×5, first 2 shown]
	v_add_f64_e32 v[38:39], v[38:39], v[50:51]
	v_add_f64_e32 v[36:37], v[36:37], v[48:49]
	v_mul_f64_e32 v[48:49], s[22:23], v[52:53]
	v_mul_f64_e32 v[50:51], s[22:23], v[179:180]
	;; [unrolled: 1-line block ×3, first 2 shown]
	v_add_f64_e32 v[46:47], v[135:136], v[46:47]
	v_add_f64_e32 v[44:45], v[175:176], v[44:45]
	;; [unrolled: 1-line block ×3, first 2 shown]
	v_mul_f64_e32 v[64:65], s[24:25], v[177:178]
	v_mul_f64_e32 v[74:75], s[28:29], v[94:95]
	;; [unrolled: 1-line block ×4, first 2 shown]
	v_add_f64_e32 v[40:41], v[10:11], v[40:41]
	v_add_f64_e32 v[54:55], v[10:11], v[54:55]
	;; [unrolled: 1-line block ×6, first 2 shown]
	v_add_f64_e64 v[117:118], v[169:170], -v[117:118]
	v_add_f64_e32 v[119:120], v[119:120], v[188:189]
	v_add_f64_e64 v[111:112], v[186:187], -v[111:112]
	v_add_f64_e32 v[34:35], v[38:39], v[34:35]
	v_add_f64_e32 v[32:33], v[36:37], v[32:33]
	v_add_f64_e64 v[36:37], v[48:49], -v[72:73]
	v_mul_f64_e32 v[38:39], s[16:17], v[94:95]
	v_mul_f64_e32 v[48:49], s[16:17], v[177:178]
	;; [unrolled: 1-line block ×3, first 2 shown]
	v_fma_f64 v[177:178], v[68:69], s[6:7], v[50:51]
	v_fma_f64 v[50:51], v[68:69], s[36:37], v[50:51]
	;; [unrolled: 1-line block ×3, first 2 shown]
	v_fma_f64 v[70:71], v[141:142], s[22:23], -v[70:71]
	v_add_f64_e32 v[141:142], v[167:168], v[192:193]
	v_add_f64_e32 v[151:152], v[151:152], v[179:180]
	;; [unrolled: 1-line block ×5, first 2 shown]
	v_mul_f64_e32 v[165:166], s[22:23], v[94:95]
	v_add_f64_e32 v[44:45], v[10:11], v[44:45]
	v_add_f64_e32 v[10:11], v[10:11], v[52:53]
	s_mov_b32 s7, 0x3fe82f19
	s_mov_b32 s6, s14
	v_mul_f64_e32 v[52:53], s[16:17], v[173:174]
	s_wait_alu 0xfffe
	v_fma_f64 v[194:195], v[84:85], s[6:7], v[64:65]
	v_fma_f64 v[64:65], v[84:85], s[14:15], v[64:65]
	v_add_f64_e32 v[109:110], v[109:110], v[175:176]
	v_add_f64_e64 v[74:75], v[74:75], -v[103:104]
	v_add_f64_e32 v[125:126], v[125:126], v[135:136]
	v_mul_f64_e32 v[192:193], s[28:29], v[90:91]
	v_mul_f64_e32 v[103:104], s[24:25], v[171:172]
	;; [unrolled: 1-line block ×3, first 2 shown]
	v_add_f64_e32 v[30:31], v[34:35], v[30:31]
	v_add_f64_e32 v[28:29], v[32:33], v[28:29]
	;; [unrolled: 1-line block ×3, first 2 shown]
	v_mul_f64_e32 v[32:33], s[24:25], v[90:91]
	v_mul_f64_e32 v[36:37], s[16:17], v[90:91]
	v_fma_f64 v[84:85], v[94:95], s[24:25], v[72:73]
	v_add_f64_e64 v[38:39], v[38:39], -v[88:89]
	v_add_f64_e32 v[40:41], v[50:51], v[40:41]
	v_add_f64_e32 v[50:51], v[157:158], v[54:55]
	;; [unrolled: 1-line block ×4, first 2 shown]
	v_mul_f64_e32 v[34:35], s[24:25], v[173:174]
	v_add_f64_e32 v[88:89], v[177:178], v[167:168]
	v_add_f64_e32 v[68:69], v[68:69], v[179:180]
	;; [unrolled: 1-line block ×3, first 2 shown]
	v_mul_f64_e32 v[173:174], s[28:29], v[173:174]
	v_fma_f64 v[72:73], v[94:95], s[24:25], -v[72:73]
	v_add_f64_e32 v[94:95], v[147:148], v[96:97]
	v_add_f64_e64 v[96:97], v[165:166], -v[137:138]
	v_add_f64_e32 v[44:45], v[141:142], v[44:45]
	v_add_f64_e32 v[76:77], v[163:164], v[78:79]
	;; [unrolled: 1-line block ×5, first 2 shown]
	v_mul_f64_e32 v[70:71], s[22:23], v[121:122]
	v_mul_f64_e32 v[78:79], s[22:23], v[171:172]
	;; [unrolled: 1-line block ×3, first 2 shown]
	v_fma_f64 v[147:148], v[90:91], s[20:21], v[129:130]
	v_add_f64_e32 v[52:53], v[105:106], v[52:53]
	v_mul_f64_e32 v[98:99], s[24:25], v[121:122]
	v_mul_f64_e32 v[137:138], s[20:21], v[171:172]
	v_fma_f64 v[90:91], v[90:91], s[20:21], -v[129:130]
	v_add_f64_e64 v[131:132], v[192:193], -v[131:132]
	v_add_f64_e32 v[26:27], v[30:31], v[26:27]
	v_add_f64_e32 v[24:25], v[28:29], v[24:25]
	;; [unrolled: 1-line block ×3, first 2 shown]
	v_mul_f64_e32 v[28:29], s[28:29], v[121:122]
	v_mul_f64_e32 v[30:31], s[28:29], v[171:172]
	v_fma_f64 v[145:146], v[80:81], s[0:1], v[190:191]
	v_add_f64_e64 v[36:37], v[36:37], -v[101:102]
	v_add_f64_e64 v[32:33], v[32:33], -v[86:87]
	v_add_f64_e32 v[50:51], v[109:110], v[50:51]
	v_add_f64_e32 v[54:55], v[74:75], v[54:55]
	;; [unrolled: 1-line block ×8, first 2 shown]
	v_fma_f64 v[80:81], v[80:81], s[26:27], v[190:191]
	v_add_f64_e32 v[34:35], v[92:93], v[34:35]
	v_add_f64_e64 v[74:75], v[135:136], -v[149:150]
	v_add_f64_e32 v[44:45], v[94:95], v[44:45]
	v_add_f64_e32 v[66:67], v[96:97], v[76:77]
	;; [unrolled: 1-line block ×5, first 2 shown]
	v_add_f64_e64 v[70:71], v[70:71], -v[123:124]
	v_add_f64_e32 v[78:79], v[127:128], v[78:79]
	v_fma_f64 v[48:49], v[121:122], s[16:17], -v[115:116]
	v_add_f64_e32 v[72:73], v[155:156], v[137:138]
	v_add_f64_e32 v[22:23], v[26:27], v[22:23]
	;; [unrolled: 1-line block ×4, first 2 shown]
	v_fma_f64 v[24:25], v[82:83], s[18:19], v[141:142]
	v_fma_f64 v[26:27], v[121:122], s[16:17], v[115:116]
	v_add_f64_e32 v[84:85], v[113:114], v[30:31]
	v_add_f64_e64 v[88:89], v[28:29], -v[107:108]
	v_fma_f64 v[38:39], v[82:83], s[10:11], v[141:142]
	v_add_f64_e32 v[50:51], v[52:53], v[50:51]
	v_add_f64_e32 v[36:37], v[36:37], v[54:55]
	v_add_f64_e64 v[82:83], v[98:99], -v[133:134]
	v_add_f64_e32 v[52:53], v[111:112], v[64:65]
	v_add_f64_e32 v[28:29], v[145:146], v[86:87]
	;; [unrolled: 1-line block ×22, first 2 shown]
	v_and_b32_e32 v36, 0xffff, v185
	v_add_f64_e32 v[34:35], v[84:85], v[34:35]
	s_delay_alu instid0(VALU_DEP_2)
	v_add_lshl_u32 v36, v183, v36, 4
	v_add_f64_e32 v[14:15], v[64:65], v[14:15]
	v_add_f64_e32 v[12:13], v[66:67], v[12:13]
	;; [unrolled: 1-line block ×3, first 2 shown]
	ds_store_b128 v36, v[60:63] offset:128
	ds_store_b128 v36, v[4:7] offset:144
	;; [unrolled: 1-line block ×8, first 2 shown]
	ds_store_b128 v36, v[12:15]
	ds_store_b128 v36, v[32:35] offset:16
	ds_store_b128 v36, v[0:3] offset:160
.LBB0_7:
	s_or_b32 exec_lo, exec_lo, s33
	v_and_b32_e32 v8, 0xff, v181
	s_load_b128 s[4:7], s[4:5], 0x0
	global_wb scope:SCOPE_SE
	s_wait_dscnt 0x0
	s_wait_kmcnt 0x0
	s_barrier_signal -1
	s_barrier_wait -1
	v_mul_lo_u16 v8, 0x75, v8
	global_inv scope:SCOPE_SE
	v_add_lshl_u32 v187, v183, v181, 4
	s_mov_b32 s0, 0x37e14327
	s_mov_b32 s1, 0x3fe948f6
	v_lshrrev_b16 v8, 8, v8
	s_mov_b32 s10, 0x36b3c0b5
	s_mov_b32 s14, 0xe976ee23
	;; [unrolled: 1-line block ×4, first 2 shown]
	v_sub_nc_u16 v9, v181, v8
	s_mov_b32 s17, 0x3fe77f67
	s_mov_b32 s16, 0x5476071b
	;; [unrolled: 1-line block ×4, first 2 shown]
	v_lshrrev_b16 v9, 1, v9
	s_delay_alu instid0(VALU_DEP_1) | instskip(NEXT) | instid1(VALU_DEP_1)
	v_and_b32_e32 v9, 0x7f, v9
	v_add_nc_u16 v8, v9, v8
	s_delay_alu instid0(VALU_DEP_1) | instskip(NEXT) | instid1(VALU_DEP_1)
	v_lshrrev_b16 v88, 3, v8
	v_mul_lo_u16 v8, v88, 11
	s_delay_alu instid0(VALU_DEP_1) | instskip(NEXT) | instid1(VALU_DEP_1)
	v_sub_nc_u16 v8, v181, v8
	v_and_b32_e32 v89, 0xff, v8
	s_delay_alu instid0(VALU_DEP_1) | instskip(NEXT) | instid1(VALU_DEP_1)
	v_mul_u32_u24_e32 v8, 6, v89
	v_lshlrev_b32_e32 v16, 4, v8
	s_clause 0x5
	global_load_b128 v[12:15], v16, s[2:3]
	global_load_b128 v[8:11], v16, s[2:3] offset:16
	global_load_b128 v[24:27], v16, s[2:3] offset:80
	;; [unrolled: 1-line block ×5, first 2 shown]
	ds_load_b128 v[16:19], v187 offset:528
	ds_load_b128 v[20:23], v187 offset:1056
	;; [unrolled: 1-line block ×6, first 2 shown]
	s_wait_loadcnt_dscnt 0x505
	v_mul_f64_e32 v[64:65], v[18:19], v[14:15]
	v_mul_f64_e32 v[66:67], v[16:17], v[14:15]
	s_wait_loadcnt_dscnt 0x404
	v_mul_f64_e32 v[68:69], v[22:23], v[10:11]
	v_mul_f64_e32 v[70:71], v[20:21], v[10:11]
	;; [unrolled: 3-line block ×6, first 2 shown]
	v_fma_f64 v[16:17], v[16:17], v[12:13], -v[64:65]
	v_fma_f64 v[18:19], v[18:19], v[12:13], v[66:67]
	v_fma_f64 v[20:21], v[20:21], v[8:9], -v[68:69]
	v_fma_f64 v[22:23], v[22:23], v[8:9], v[70:71]
	;; [unrolled: 2-line block ×6, first 2 shown]
	v_add_f64_e32 v[64:65], v[16:17], v[40:41]
	v_add_f64_e32 v[66:67], v[18:19], v[42:43]
	;; [unrolled: 1-line block ×4, first 2 shown]
	v_add_f64_e64 v[20:21], v[20:21], -v[44:45]
	v_add_f64_e64 v[22:23], v[22:23], -v[46:47]
	v_add_f64_e32 v[72:73], v[48:49], v[52:53]
	v_add_f64_e32 v[74:75], v[50:51], v[54:55]
	v_add_f64_e64 v[44:45], v[52:53], -v[48:49]
	v_add_f64_e64 v[46:47], v[54:55], -v[50:51]
	;; [unrolled: 1-line block ×4, first 2 shown]
	v_add_f64_e32 v[16:17], v[68:69], v[64:65]
	v_add_f64_e32 v[18:19], v[70:71], v[66:67]
	v_add_f64_e64 v[48:49], v[64:65], -v[72:73]
	v_add_f64_e64 v[50:51], v[66:67], -v[74:75]
	v_add_f64_e64 v[52:53], v[72:73], -v[68:69]
	v_add_f64_e64 v[54:55], v[74:75], -v[70:71]
	v_add_f64_e64 v[76:77], v[44:45], -v[20:21]
	v_add_f64_e64 v[78:79], v[46:47], -v[22:23]
	v_add_f64_e64 v[80:81], v[20:21], -v[40:41]
	v_add_f64_e64 v[82:83], v[22:23], -v[42:43]
	v_add_f64_e64 v[64:65], v[68:69], -v[64:65]
	v_add_f64_e64 v[66:67], v[70:71], -v[66:67]
	v_add_f64_e32 v[20:21], v[44:45], v[20:21]
	v_add_f64_e32 v[22:23], v[46:47], v[22:23]
	v_add_f64_e64 v[44:45], v[40:41], -v[44:45]
	v_add_f64_e64 v[46:47], v[42:43], -v[46:47]
	v_add_f64_e32 v[72:73], v[72:73], v[16:17]
	v_add_f64_e32 v[74:75], v[74:75], v[18:19]
	ds_load_b128 v[16:19], v187
	global_wb scope:SCOPE_SE
	s_wait_dscnt 0x0
	s_wait_alu 0xfffe
	v_mul_f64_e32 v[48:49], s[0:1], v[48:49]
	v_mul_f64_e32 v[50:51], s[0:1], v[50:51]
	s_mov_b32 s0, 0x429ad128
	v_mul_f64_e32 v[68:69], s[10:11], v[52:53]
	v_mul_f64_e32 v[70:71], s[10:11], v[54:55]
	;; [unrolled: 1-line block ×4, first 2 shown]
	s_mov_b32 s1, 0x3febfeb5
	s_mov_b32 s14, 0xaaaaaaaa
	s_wait_alu 0xfffe
	v_mul_f64_e32 v[84:85], s[0:1], v[80:81]
	v_mul_f64_e32 v[86:87], s[0:1], v[82:83]
	s_mov_b32 s15, 0xbff2aaaa
	v_add_f64_e32 v[20:21], v[20:21], v[40:41]
	v_add_f64_e32 v[22:23], v[22:23], v[42:43]
	s_barrier_signal -1
	s_barrier_wait -1
	global_inv scope:SCOPE_SE
	v_add_f64_e32 v[16:17], v[16:17], v[72:73]
	v_add_f64_e32 v[18:19], v[18:19], v[74:75]
	v_fma_f64 v[40:41], v[52:53], s[10:11], v[48:49]
	v_fma_f64 v[42:43], v[54:55], s[10:11], v[50:51]
	v_fma_f64 v[52:53], v[64:65], s[16:17], -v[68:69]
	v_fma_f64 v[54:55], v[66:67], s[16:17], -v[70:71]
	s_mov_b32 s17, 0xbfe77f67
	v_fma_f64 v[68:69], v[44:45], s[18:19], v[76:77]
	v_fma_f64 v[70:71], v[46:47], s[18:19], v[78:79]
	s_mov_b32 s19, 0xbfd5d0dc
	v_fma_f64 v[76:77], v[80:81], s[0:1], -v[76:77]
	v_fma_f64 v[78:79], v[82:83], s[0:1], -v[78:79]
	s_wait_alu 0xfffe
	v_fma_f64 v[44:45], v[44:45], s[18:19], -v[84:85]
	v_fma_f64 v[46:47], v[46:47], s[18:19], -v[86:87]
	;; [unrolled: 1-line block ×4, first 2 shown]
	s_mov_b32 s0, 0x37c3f68c
	s_mov_b32 s1, 0x3fdc38aa
	v_fma_f64 v[72:73], v[72:73], s[14:15], v[16:17]
	v_fma_f64 v[74:75], v[74:75], s[14:15], v[18:19]
	s_wait_alu 0xfffe
	v_fma_f64 v[66:67], v[20:21], s[0:1], v[68:69]
	v_fma_f64 v[64:65], v[22:23], s[0:1], v[70:71]
	;; [unrolled: 1-line block ×6, first 2 shown]
	v_cmp_gt_u16_e64 s0, 11, v181
	v_add_f64_e32 v[80:81], v[40:41], v[72:73]
	v_add_f64_e32 v[82:83], v[42:43], v[74:75]
	v_add_f64_e32 v[84:85], v[48:49], v[72:73]
	v_add_f64_e32 v[86:87], v[50:51], v[74:75]
	v_add_f64_e32 v[48:49], v[52:53], v[72:73]
	v_add_f64_e32 v[50:51], v[54:55], v[74:75]
	v_add_f64_e32 v[20:21], v[64:65], v[80:81]
	v_add_f64_e64 v[22:23], v[82:83], -v[66:67]
	v_add_f64_e32 v[40:41], v[78:79], v[84:85]
	v_add_f64_e64 v[42:43], v[86:87], -v[76:77]
	v_add_f64_e64 v[44:45], v[48:49], -v[70:71]
	v_add_f64_e32 v[46:47], v[68:69], v[50:51]
	v_add_f64_e32 v[48:49], v[70:71], v[48:49]
	v_add_f64_e64 v[50:51], v[50:51], -v[68:69]
	v_add_f64_e64 v[52:53], v[84:85], -v[78:79]
	v_add_f64_e32 v[54:55], v[76:77], v[86:87]
	v_add_f64_e64 v[64:65], v[80:81], -v[64:65]
	v_add_f64_e32 v[66:67], v[66:67], v[82:83]
	v_and_b32_e32 v68, 0xffff, v88
	s_delay_alu instid0(VALU_DEP_1) | instskip(NEXT) | instid1(VALU_DEP_1)
	v_mul_u32_u24_e32 v68, 0x4d, v68
	v_add_nc_u32_e32 v68, v68, v89
	s_delay_alu instid0(VALU_DEP_1)
	v_add_lshl_u32 v188, v183, v68, 4
	ds_store_b128 v188, v[16:19]
	ds_store_b128 v188, v[20:23] offset:176
	ds_store_b128 v188, v[40:43] offset:352
	;; [unrolled: 1-line block ×6, first 2 shown]
	global_wb scope:SCOPE_SE
	s_wait_dscnt 0x0
	s_barrier_signal -1
	s_barrier_wait -1
	global_inv scope:SCOPE_SE
	ds_load_b128 v[72:75], v187
	ds_load_b128 v[68:71], v187 offset:528
	ds_load_b128 v[84:87], v187 offset:1232
	;; [unrolled: 1-line block ×5, first 2 shown]
	s_and_saveexec_b32 s1, s0
	s_cbranch_execz .LBB0_9
; %bb.8:
	ds_load_b128 v[64:67], v187 offset:1056
	ds_load_b128 v[56:59], v187 offset:2288
	;; [unrolled: 1-line block ×3, first 2 shown]
.LBB0_9:
	s_wait_alu 0xfffe
	s_or_b32 exec_lo, exec_lo, s1
	v_add_co_u32 v16, s1, 0x42, v181
	s_wait_alu 0xf1ff
	v_add_co_ci_u32_e64 v17, null, 0, 0, s1
	v_add_co_u32 v18, s1, v181, -11
	s_wait_alu 0xf1ff
	v_add_co_ci_u32_e64 v19, null, 0, -1, s1
	s_mov_b32 s11, 0xbfebb67a
	s_delay_alu instid0(VALU_DEP_2) | instskip(SKIP_1) | instid1(VALU_DEP_3)
	v_cndmask_b32_e64 v16, v18, v16, s0
	v_lshlrev_b32_e32 v18, 5, v181
	v_cndmask_b32_e64 v17, v19, v17, s0
	s_clause 0x1
	global_load_b128 v[40:43], v18, s[2:3] offset:1072
	global_load_b128 v[44:47], v18, s[2:3] offset:1056
	v_lshlrev_b64_e32 v[16:17], 5, v[16:17]
	v_add_nc_u32_e32 v18, 0x420, v18
	v_lshl_add_u32 v186, v181, 4, v184
	v_add_nc_u32_e32 v189, v182, v184
	s_delay_alu instid0(VALU_DEP_4)
	v_add_co_u32 v16, s1, s2, v16
	s_wait_alu 0xf1ff
	v_add_co_ci_u32_e64 v17, s1, s3, v17, s1
	s_clause 0x3
	global_load_b128 v[52:55], v18, s[2:3] offset:1056
	global_load_b128 v[48:51], v18, s[2:3] offset:1072
	global_load_b128 v[20:23], v[16:17], off offset:1056
	global_load_b128 v[16:19], v[16:17], off offset:1072
	s_mov_b32 s2, 0xe8584caa
	s_mov_b32 s3, 0x3febb67a
	s_wait_alu 0xfffe
	s_mov_b32 s10, s2
	s_wait_loadcnt_dscnt 0x501
	v_mul_f64_e32 v[94:95], v[90:91], v[42:43]
	s_wait_loadcnt 0x4
	v_mul_f64_e32 v[92:93], v[86:87], v[46:47]
	v_mul_f64_e32 v[96:97], v[84:85], v[46:47]
	;; [unrolled: 1-line block ×3, first 2 shown]
	s_wait_loadcnt 0x3
	v_mul_f64_e32 v[101:102], v[78:79], v[54:55]
	s_wait_loadcnt_dscnt 0x200
	v_mul_f64_e32 v[103:104], v[82:83], v[50:51]
	v_mul_f64_e32 v[105:106], v[76:77], v[54:55]
	;; [unrolled: 1-line block ×3, first 2 shown]
	s_wait_loadcnt 0x1
	v_mul_f64_e32 v[109:110], v[58:59], v[22:23]
	s_wait_loadcnt 0x0
	v_mul_f64_e32 v[111:112], v[62:63], v[18:19]
	v_mul_f64_e32 v[113:114], v[56:57], v[22:23]
	v_mul_f64_e32 v[115:116], v[60:61], v[18:19]
	v_fma_f64 v[88:89], v[88:89], v[40:41], -v[94:95]
	v_fma_f64 v[84:85], v[84:85], v[44:45], -v[92:93]
	v_fma_f64 v[86:87], v[86:87], v[44:45], v[96:97]
	v_fma_f64 v[90:91], v[90:91], v[40:41], v[98:99]
	v_fma_f64 v[76:77], v[76:77], v[52:53], -v[101:102]
	v_fma_f64 v[80:81], v[80:81], v[48:49], -v[103:104]
	v_fma_f64 v[78:79], v[78:79], v[52:53], v[105:106]
	v_fma_f64 v[82:83], v[82:83], v[48:49], v[107:108]
	;; [unrolled: 4-line block ×3, first 2 shown]
	v_add_f64_e32 v[92:93], v[84:85], v[88:89]
	v_add_f64_e32 v[105:106], v[72:73], v[84:85]
	;; [unrolled: 1-line block ×3, first 2 shown]
	v_add_f64_e64 v[107:108], v[86:87], -v[90:91]
	v_add_f64_e32 v[86:87], v[74:75], v[86:87]
	v_add_f64_e64 v[117:118], v[84:85], -v[88:89]
	v_add_f64_e32 v[109:110], v[68:69], v[76:77]
	v_add_f64_e32 v[96:97], v[76:77], v[80:81]
	;; [unrolled: 1-line block ×8, first 2 shown]
	v_add_f64_e64 v[119:120], v[78:79], -v[82:83]
	v_add_f64_e64 v[121:122], v[76:77], -v[80:81]
	v_add_f64_e64 v[123:124], v[58:59], -v[62:63]
	v_add_f64_e64 v[125:126], v[56:57], -v[60:61]
	v_fma_f64 v[72:73], v[92:93], -0.5, v[72:73]
	v_add_f64_e32 v[56:57], v[105:106], v[88:89]
	v_fma_f64 v[74:75], v[94:95], -0.5, v[74:75]
	v_add_f64_e32 v[58:59], v[86:87], v[90:91]
	;; [unrolled: 2-line block ×6, first 2 shown]
	v_fma_f64 v[84:85], v[107:108], s[2:3], v[72:73]
	s_wait_alu 0xfffe
	v_fma_f64 v[92:93], v[107:108], s[10:11], v[72:73]
	v_fma_f64 v[86:87], v[117:118], s[10:11], v[74:75]
	;; [unrolled: 1-line block ×11, first 2 shown]
	ds_store_b128 v186, v[84:87] offset:1232
	ds_store_b128 v186, v[92:95] offset:2464
	ds_store_b128 v186, v[56:59]
	ds_store_b128 v186, v[96:99] offset:528
	ds_store_b128 v189, v[88:91] offset:1760
	;; [unrolled: 1-line block ×3, first 2 shown]
	s_and_saveexec_b32 s1, s0
	s_cbranch_execz .LBB0_11
; %bb.10:
	ds_store_b128 v186, v[76:79] offset:1056
	ds_store_b128 v186, v[64:67] offset:2288
	;; [unrolled: 1-line block ×3, first 2 shown]
.LBB0_11:
	s_wait_alu 0xfffe
	s_or_b32 exec_lo, exec_lo, s1
	global_wb scope:SCOPE_SE
	s_wait_dscnt 0x0
	s_barrier_signal -1
	s_barrier_wait -1
	global_inv scope:SCOPE_SE
	s_and_saveexec_b32 s1, vcc_lo
	s_cbranch_execz .LBB0_13
; %bb.12:
	s_add_nc_u64 s[2:3], s[12:13], 0xe70
	s_clause 0xa
	global_load_b128 v[68:71], v182, s[12:13] offset:3696
	global_load_b128 v[72:75], v182, s[2:3] offset:336
	;; [unrolled: 1-line block ×11, first 2 shown]
	ds_load_b128 v[137:140], v186
	ds_load_b128 v[141:144], v186 offset:336
	ds_load_b128 v[145:148], v186 offset:672
	;; [unrolled: 1-line block ×10, first 2 shown]
	s_wait_loadcnt_dscnt 0xa0a
	v_mul_f64_e32 v[190:191], v[139:140], v[70:71]
	v_mul_f64_e32 v[70:71], v[137:138], v[70:71]
	s_wait_loadcnt_dscnt 0x909
	v_mul_f64_e32 v[192:193], v[143:144], v[74:75]
	v_mul_f64_e32 v[74:75], v[141:142], v[74:75]
	s_wait_loadcnt_dscnt 0x808
	v_mul_f64_e32 v[194:195], v[147:148], v[103:104]
	v_mul_f64_e32 v[103:104], v[145:146], v[103:104]
	s_wait_loadcnt_dscnt 0x707
	v_mul_f64_e32 v[196:197], v[151:152], v[107:108]
	v_mul_f64_e32 v[107:108], v[149:150], v[107:108]
	s_wait_loadcnt_dscnt 0x606
	v_mul_f64_e32 v[198:199], v[155:156], v[111:112]
	v_mul_f64_e32 v[111:112], v[153:154], v[111:112]
	s_wait_loadcnt_dscnt 0x505
	v_mul_f64_e32 v[200:201], v[159:160], v[115:116]
	v_mul_f64_e32 v[115:116], v[157:158], v[115:116]
	s_wait_loadcnt_dscnt 0x404
	v_mul_f64_e32 v[202:203], v[163:164], v[119:120]
	v_mul_f64_e32 v[119:120], v[161:162], v[119:120]
	s_wait_loadcnt_dscnt 0x303
	v_mul_f64_e32 v[204:205], v[167:168], v[123:124]
	v_mul_f64_e32 v[123:124], v[165:166], v[123:124]
	s_wait_loadcnt_dscnt 0x202
	v_mul_f64_e32 v[206:207], v[171:172], v[127:128]
	v_mul_f64_e32 v[127:128], v[169:170], v[127:128]
	s_wait_loadcnt_dscnt 0x101
	v_mul_f64_e32 v[208:209], v[175:176], v[131:132]
	v_mul_f64_e32 v[131:132], v[173:174], v[131:132]
	s_wait_loadcnt_dscnt 0x0
	v_mul_f64_e32 v[210:211], v[179:180], v[135:136]
	v_mul_f64_e32 v[212:213], v[177:178], v[135:136]
	v_fma_f64 v[135:136], v[137:138], v[68:69], -v[190:191]
	v_fma_f64 v[137:138], v[139:140], v[68:69], v[70:71]
	v_fma_f64 v[68:69], v[141:142], v[72:73], -v[192:193]
	v_fma_f64 v[70:71], v[143:144], v[72:73], v[74:75]
	v_fma_f64 v[72:73], v[145:146], v[101:102], -v[194:195]
	v_fma_f64 v[74:75], v[147:148], v[101:102], v[103:104]
	v_fma_f64 v[101:102], v[149:150], v[105:106], -v[196:197]
	v_fma_f64 v[103:104], v[151:152], v[105:106], v[107:108]
	v_fma_f64 v[105:106], v[153:154], v[109:110], -v[198:199]
	v_fma_f64 v[107:108], v[155:156], v[109:110], v[111:112]
	v_fma_f64 v[109:110], v[157:158], v[113:114], -v[200:201]
	v_fma_f64 v[111:112], v[159:160], v[113:114], v[115:116]
	v_fma_f64 v[113:114], v[161:162], v[117:118], -v[202:203]
	v_fma_f64 v[115:116], v[163:164], v[117:118], v[119:120]
	v_fma_f64 v[117:118], v[165:166], v[121:122], -v[204:205]
	v_fma_f64 v[119:120], v[167:168], v[121:122], v[123:124]
	v_fma_f64 v[121:122], v[169:170], v[125:126], -v[206:207]
	v_fma_f64 v[123:124], v[171:172], v[125:126], v[127:128]
	v_fma_f64 v[125:126], v[173:174], v[129:130], -v[208:209]
	v_fma_f64 v[127:128], v[175:176], v[129:130], v[131:132]
	v_fma_f64 v[129:130], v[177:178], v[133:134], -v[210:211]
	v_fma_f64 v[131:132], v[179:180], v[133:134], v[212:213]
	ds_store_b128 v186, v[135:138]
	ds_store_b128 v186, v[68:71] offset:336
	ds_store_b128 v186, v[72:75] offset:672
	;; [unrolled: 1-line block ×10, first 2 shown]
.LBB0_13:
	s_wait_alu 0xfffe
	s_or_b32 exec_lo, exec_lo, s1
	global_wb scope:SCOPE_SE
	s_wait_dscnt 0x0
	s_barrier_signal -1
	s_barrier_wait -1
	global_inv scope:SCOPE_SE
	s_and_saveexec_b32 s1, vcc_lo
	s_cbranch_execz .LBB0_15
; %bb.14:
	ds_load_b128 v[56:59], v186
	ds_load_b128 v[84:87], v186 offset:336
	ds_load_b128 v[92:95], v186 offset:672
	;; [unrolled: 1-line block ×10, first 2 shown]
.LBB0_15:
	s_wait_alu 0xfffe
	s_or_b32 exec_lo, exec_lo, s1
	s_wait_dscnt 0x0
	v_add_f64_e64 v[129:130], v[86:87], -v[2:3]
	v_add_f64_e32 v[103:104], v[86:87], v[2:3]
	s_mov_b32 s2, 0x640f44db
	s_mov_b32 s22, 0x43842ef
	;; [unrolled: 1-line block ×8, first 2 shown]
	v_add_f64_e32 v[101:102], v[84:85], v[0:1]
	v_add_f64_e64 v[131:132], v[84:85], -v[0:1]
	v_add_f64_e64 v[147:148], v[94:95], -v[6:7]
	v_add_f64_e32 v[111:112], v[94:95], v[6:7]
	s_mov_b32 s10, 0x9bcd5057
	s_mov_b32 s26, 0xfd768dbf
	;; [unrolled: 1-line block ×5, first 2 shown]
	s_wait_alu 0xfffe
	s_mov_b32 s24, s22
	v_add_f64_e32 v[117:118], v[92:93], v[4:5]
	v_add_f64_e64 v[163:164], v[92:93], -v[4:5]
	v_add_f64_e64 v[159:160], v[98:99], -v[62:63]
	v_add_f64_e32 v[107:108], v[98:99], v[62:63]
	s_mov_b32 s16, 0x8764f0ba
	s_mov_b32 s34, 0xf8bb580b
	;; [unrolled: 1-line block ×6, first 2 shown]
	v_add_f64_e32 v[115:116], v[96:97], v[60:61]
	v_add_f64_e64 v[177:178], v[96:97], -v[60:61]
	v_add_f64_e32 v[109:110], v[90:91], v[66:67]
	v_add_f64_e64 v[171:172], v[90:91], -v[66:67]
	s_mov_b32 s29, 0xbfd207e7
	s_mov_b32 s28, s26
	v_add_f64_e32 v[119:120], v[88:89], v[64:65]
	v_add_f64_e64 v[179:180], v[88:89], -v[64:65]
	v_mul_f64_e32 v[133:134], s[22:23], v[129:130]
	v_mul_f64_e32 v[137:138], s[2:3], v[103:104]
	;; [unrolled: 1-line block ×4, first 2 shown]
	v_add_f64_e32 v[105:106], v[82:83], v[78:79]
	v_add_f64_e64 v[151:152], v[82:83], -v[78:79]
	v_add_f64_e64 v[175:176], v[80:81], -v[76:77]
	global_wb scope:SCOPE_SE
	s_barrier_signal -1
	s_barrier_wait -1
	global_inv scope:SCOPE_SE
	v_mul_f64_e32 v[157:158], s[26:27], v[147:148]
	v_mul_f64_e32 v[165:166], s[10:11], v[111:112]
	s_wait_alu 0xfffe
	v_mul_f64_e32 v[169:170], s[24:25], v[147:148]
	v_mul_f64_e32 v[173:174], s[2:3], v[111:112]
	;; [unrolled: 1-line block ×10, first 2 shown]
	v_fma_f64 v[68:69], v[101:102], s[2:3], -v[133:134]
	v_fma_f64 v[70:71], v[131:132], s[22:23], v[137:138]
	v_fma_f64 v[72:73], v[101:102], s[14:15], -v[141:142]
	v_fma_f64 v[74:75], v[131:132], s[18:19], v[145:146]
	v_mul_f64_e32 v[127:128], s[20:21], v[105:106]
	v_fma_f64 v[113:114], v[117:118], s[10:11], -v[157:158]
	v_fma_f64 v[121:122], v[163:164], s[26:27], v[165:166]
	v_fma_f64 v[123:124], v[117:118], s[2:3], -v[169:170]
	v_fma_f64 v[125:126], v[163:164], s[24:25], v[173:174]
	;; [unrolled: 2-line block ×4, first 2 shown]
	v_fma_f64 v[200:201], v[179:180], s[34:35], v[139:140]
	v_fma_f64 v[198:199], v[119:120], s[16:17], -v[135:136]
	v_fma_f64 v[202:203], v[119:120], s[10:11], -v[143:144]
	v_fma_f64 v[204:205], v[179:180], s[28:29], v[149:150]
	v_add_f64_e32 v[68:69], v[56:57], v[68:69]
	v_add_f64_e32 v[70:71], v[58:59], v[70:71]
	;; [unrolled: 1-line block ×4, first 2 shown]
	s_delay_alu instid0(VALU_DEP_4) | instskip(NEXT) | instid1(VALU_DEP_4)
	v_add_f64_e32 v[68:69], v[113:114], v[68:69]
	v_add_f64_e32 v[70:71], v[121:122], v[70:71]
	s_delay_alu instid0(VALU_DEP_4) | instskip(NEXT) | instid1(VALU_DEP_4)
	v_add_f64_e32 v[72:73], v[123:124], v[72:73]
	v_add_f64_e32 v[74:75], v[125:126], v[74:75]
	;; [unrolled: 1-line block ×3, first 2 shown]
	v_mul_f64_e32 v[121:122], s[18:19], v[151:152]
	v_mul_f64_e32 v[123:124], s[14:15], v[105:106]
	;; [unrolled: 1-line block ×3, first 2 shown]
	v_add_f64_e32 v[68:69], v[190:191], v[68:69]
	v_add_f64_e32 v[70:71], v[192:193], v[70:71]
	v_add_f64_e32 v[72:73], v[194:195], v[72:73]
	v_add_f64_e32 v[74:75], v[196:197], v[74:75]
	v_fma_f64 v[196:197], v[175:176], s[30:31], v[127:128]
	v_fma_f64 v[190:191], v[113:114], s[14:15], -v[121:122]
	v_fma_f64 v[192:193], v[175:176], s[18:19], v[123:124]
	v_fma_f64 v[194:195], v[113:114], s[20:21], -v[125:126]
	v_add_f64_e32 v[68:69], v[198:199], v[68:69]
	v_add_f64_e32 v[70:71], v[200:201], v[70:71]
	;; [unrolled: 1-line block ×4, first 2 shown]
	s_delay_alu instid0(VALU_DEP_4) | instskip(NEXT) | instid1(VALU_DEP_4)
	v_add_f64_e32 v[72:73], v[190:191], v[68:69]
	v_add_f64_e32 v[74:75], v[192:193], v[70:71]
	s_delay_alu instid0(VALU_DEP_4) | instskip(NEXT) | instid1(VALU_DEP_4)
	v_add_f64_e32 v[68:69], v[194:195], v[198:199]
	v_add_f64_e32 v[70:71], v[196:197], v[200:201]
	s_and_saveexec_b32 s1, vcc_lo
	s_cbranch_execz .LBB0_17
; %bb.16:
	v_add_f64_e32 v[86:87], v[58:59], v[86:87]
	v_add_f64_e32 v[84:85], v[56:57], v[84:85]
	v_mul_f64_e32 v[192:193], s[28:29], v[131:132]
	v_mul_f64_e32 v[194:195], s[28:29], v[129:130]
	;; [unrolled: 1-line block ×6, first 2 shown]
	s_mov_b32 s31, 0xbfed1bb4
	v_mul_f64_e32 v[206:207], s[34:35], v[131:132]
	v_mul_f64_e32 v[210:211], s[34:35], v[129:130]
	s_wait_alu 0xfffe
	v_mul_f64_e32 v[129:130], s[30:31], v[129:130]
	v_mul_f64_e32 v[218:219], s[34:35], v[179:180]
	;; [unrolled: 1-line block ×19, first 2 shown]
	v_add_f64_e32 v[86:87], v[86:87], v[94:95]
	v_add_f64_e32 v[84:85], v[84:85], v[92:93]
	v_mul_f64_e32 v[92:93], s[2:3], v[101:102]
	v_mul_f64_e32 v[94:95], s[22:23], v[131:132]
	v_fma_f64 v[246:247], v[103:104], s[10:11], v[192:193]
	v_fma_f64 v[248:249], v[101:102], s[10:11], -v[194:195]
	v_fma_f64 v[192:193], v[103:104], s[10:11], -v[192:193]
	v_fma_f64 v[194:195], v[101:102], s[10:11], v[194:195]
	v_add_f64_e64 v[155:156], v[155:156], -v[198:199]
	v_add_f64_e64 v[139:140], v[139:140], -v[218:219]
	v_add_f64_e32 v[169:170], v[208:209], v[169:170]
	v_add_f64_e64 v[173:174], v[173:174], -v[212:213]
	v_add_f64_e32 v[157:158], v[190:191], v[157:158]
	v_add_f64_e64 v[165:166], v[165:166], -v[196:197]
	v_fma_f64 v[196:197], v[111:112], s[14:15], -v[228:229]
	v_fma_f64 v[190:191], v[117:118], s[14:15], -v[230:231]
	v_fma_f64 v[208:209], v[117:118], s[14:15], v[230:231]
	v_add_f64_e32 v[153:154], v[214:215], v[153:154]
	v_add_f64_e32 v[143:144], v[220:221], v[143:144]
	v_add_f64_e64 v[149:150], v[149:150], -v[222:223]
	v_add_f64_e32 v[135:136], v[216:217], v[135:136]
	v_add_f64_e32 v[125:126], v[232:233], v[125:126]
	v_add_f64_e64 v[123:124], v[123:124], -v[226:227]
	v_add_f64_e32 v[121:122], v[224:225], v[121:122]
	v_add_f64_e32 v[86:87], v[86:87], v[98:99]
	;; [unrolled: 1-line block ×3, first 2 shown]
	v_mul_f64_e32 v[96:97], s[14:15], v[101:102]
	v_mul_f64_e32 v[98:99], s[18:19], v[131:132]
	;; [unrolled: 1-line block ×3, first 2 shown]
	v_add_f64_e64 v[94:95], v[137:138], -v[94:95]
	v_add_f64_e32 v[92:93], v[92:93], v[133:134]
	v_fma_f64 v[137:138], v[103:104], s[16:17], -v[206:207]
	v_fma_f64 v[133:134], v[103:104], s[16:17], v[206:207]
	v_fma_f64 v[206:207], v[101:102], s[20:21], v[129:130]
	v_fma_f64 v[129:130], v[101:102], s[20:21], -v[129:130]
	v_add_f64_e32 v[192:193], v[58:59], v[192:193]
	v_add_f64_e32 v[194:195], v[56:57], v[194:195]
	;; [unrolled: 1-line block ×4, first 2 shown]
	v_mul_f64_e32 v[90:91], s[34:35], v[177:178]
	s_mov_b32 s35, 0x3fe14ced
	v_add_f64_e64 v[98:99], v[145:146], -v[98:99]
	v_add_f64_e32 v[96:97], v[96:97], v[141:142]
	s_wait_alu 0xfffe
	v_mul_f64_e32 v[234:235], s[34:35], v[163:164]
	v_mul_f64_e32 v[236:237], s[34:35], v[147:148]
	;; [unrolled: 1-line block ×4, first 2 shown]
	v_fma_f64 v[141:142], v[101:102], s[16:17], v[210:211]
	v_fma_f64 v[145:146], v[103:104], s[20:21], -v[131:132]
	v_fma_f64 v[103:104], v[103:104], s[20:21], v[131:132]
	v_mul_f64_e32 v[88:89], s[16:17], v[115:116]
	v_mul_f64_e32 v[131:132], s[22:23], v[177:178]
	v_add_f64_e32 v[94:95], v[58:59], v[94:95]
	v_add_f64_e32 v[92:93], v[56:57], v[92:93]
	;; [unrolled: 1-line block ×7, first 2 shown]
	v_fma_f64 v[84:85], v[101:102], s[16:17], -v[210:211]
	v_mul_f64_e32 v[86:87], s[26:27], v[177:178]
	v_add_f64_e32 v[98:99], v[58:59], v[98:99]
	v_add_f64_e32 v[96:97], v[56:57], v[96:97]
	v_mul_f64_e32 v[101:102], s[26:27], v[159:160]
	v_mul_f64_e32 v[159:160], s[22:23], v[159:160]
	v_fma_f64 v[177:178], v[111:112], s[14:15], v[228:229]
	v_fma_f64 v[210:211], v[111:112], s[16:17], v[234:235]
	v_fma_f64 v[212:213], v[117:118], s[16:17], -v[236:237]
	v_fma_f64 v[228:229], v[111:112], s[16:17], -v[234:235]
	v_fma_f64 v[230:231], v[117:118], s[16:17], v[236:237]
	v_fma_f64 v[234:235], v[111:112], s[20:21], v[163:164]
	v_fma_f64 v[236:237], v[117:118], s[20:21], -v[147:148]
	v_fma_f64 v[111:112], v[111:112], s[20:21], -v[163:164]
	v_fma_f64 v[117:118], v[117:118], s[20:21], v[147:148]
	v_add_f64_e32 v[147:148], v[58:59], v[246:247]
	v_add_f64_e32 v[163:164], v[56:57], v[248:249]
	;; [unrolled: 1-line block ×6, first 2 shown]
	v_add_f64_e64 v[90:91], v[167:168], -v[90:91]
	v_add_f64_e32 v[88:89], v[88:89], v[161:162]
	v_mul_f64_e32 v[129:130], s[18:19], v[171:172]
	v_fma_f64 v[198:199], v[107:108], s[2:3], v[131:132]
	v_add_f64_e32 v[94:95], v[165:166], v[94:95]
	v_add_f64_e32 v[92:93], v[157:158], v[92:93]
	v_fma_f64 v[157:158], v[109:110], s[20:21], v[202:203]
	v_fma_f64 v[165:166], v[119:120], s[20:21], -v[204:205]
	v_add_f64_e32 v[78:79], v[82:83], v[78:79]
	v_add_f64_e32 v[76:77], v[80:81], v[76:77]
	v_add_f64_e32 v[56:57], v[56:57], v[84:85]
	v_mul_f64_e32 v[80:81], s[24:25], v[179:180]
	v_add_f64_e32 v[98:99], v[173:174], v[98:99]
	v_add_f64_e32 v[96:97], v[169:170], v[96:97]
	v_mul_f64_e32 v[82:83], s[24:25], v[171:172]
	v_mul_f64_e32 v[84:85], s[18:19], v[179:180]
	v_fma_f64 v[171:172], v[107:108], s[14:15], v[240:241]
	v_fma_f64 v[179:180], v[115:116], s[14:15], -v[244:245]
	v_fma_f64 v[240:241], v[107:108], s[14:15], -v[240:241]
	v_fma_f64 v[244:245], v[115:116], s[14:15], v[244:245]
	v_fma_f64 v[161:162], v[107:108], s[10:11], v[86:87]
	v_fma_f64 v[167:168], v[115:116], s[10:11], -v[101:102]
	v_fma_f64 v[86:87], v[107:108], s[10:11], -v[86:87]
	v_fma_f64 v[101:102], v[115:116], s[10:11], v[101:102]
	v_fma_f64 v[214:215], v[115:116], s[2:3], -v[159:160]
	v_fma_f64 v[107:108], v[107:108], s[2:3], -v[131:132]
	v_fma_f64 v[115:116], v[115:116], s[2:3], v[159:160]
	v_add_f64_e32 v[131:132], v[210:211], v[147:148]
	v_add_f64_e32 v[147:148], v[212:213], v[163:164]
	;; [unrolled: 1-line block ×11, first 2 shown]
	v_mul_f64_e32 v[145:146], s[34:35], v[175:176]
	v_fma_f64 v[169:170], v[109:110], s[20:21], -v[202:203]
	v_fma_f64 v[173:174], v[119:120], s[20:21], v[204:205]
	v_fma_f64 v[192:193], v[119:120], s[14:15], -v[129:130]
	v_add_f64_e32 v[94:95], v[155:156], v[94:95]
	v_add_f64_e32 v[92:93], v[153:154], v[92:93]
	;; [unrolled: 1-line block ×5, first 2 shown]
	v_mul_f64_e32 v[76:77], s[28:29], v[175:176]
	v_add_f64_e32 v[90:91], v[90:91], v[98:99]
	v_add_f64_e32 v[88:89], v[88:89], v[96:97]
	v_mul_f64_e32 v[78:79], s[28:29], v[151:152]
	v_fma_f64 v[175:176], v[109:110], s[2:3], v[80:81]
	v_fma_f64 v[177:178], v[119:120], s[2:3], -v[82:83]
	v_fma_f64 v[80:81], v[109:110], s[2:3], -v[80:81]
	v_fma_f64 v[82:83], v[119:120], s[2:3], v[82:83]
	v_fma_f64 v[190:191], v[109:110], s[14:15], v[84:85]
	v_fma_f64 v[84:85], v[109:110], s[14:15], -v[84:85]
	v_fma_f64 v[109:110], v[119:120], s[14:15], v[129:130]
	v_mul_f64_e32 v[151:152], s[34:35], v[151:152]
	v_add_f64_e32 v[119:120], v[171:172], v[131:132]
	v_add_f64_e32 v[129:130], v[179:180], v[147:148]
	;; [unrolled: 1-line block ×11, first 2 shown]
	v_add_f64_e64 v[117:118], v[127:128], -v[200:201]
	v_fma_f64 v[111:112], v[105:106], s[2:3], -v[238:239]
	v_fma_f64 v[115:116], v[113:114], s[2:3], v[242:243]
	v_fma_f64 v[141:142], v[105:106], s[16:17], v[145:146]
	v_add_f64_e32 v[94:95], v[139:140], v[94:95]
	v_add_f64_e32 v[92:93], v[135:136], v[92:93]
	;; [unrolled: 1-line block ×5, first 2 shown]
	v_fma_f64 v[64:65], v[105:106], s[2:3], v[238:239]
	v_add_f64_e32 v[90:91], v[149:150], v[90:91]
	v_add_f64_e32 v[88:89], v[143:144], v[88:89]
	v_fma_f64 v[133:134], v[113:114], s[10:11], -v[78:79]
	v_fma_f64 v[137:138], v[113:114], s[10:11], v[78:79]
	v_fma_f64 v[66:67], v[113:114], s[2:3], -v[242:243]
	v_fma_f64 v[127:128], v[105:106], s[10:11], v[76:77]
	v_fma_f64 v[76:77], v[105:106], s[10:11], -v[76:77]
	v_fma_f64 v[105:106], v[105:106], s[16:17], -v[145:146]
	;; [unrolled: 1-line block ×3, first 2 shown]
	v_fma_f64 v[113:114], v[113:114], s[16:17], v[151:152]
	v_add_f64_e32 v[78:79], v[157:158], v[119:120]
	v_add_f64_e32 v[119:120], v[165:166], v[129:130]
	;; [unrolled: 1-line block ×29, first 2 shown]
	v_and_b32_e32 v92, 0xffff, v185
	s_delay_alu instid0(VALU_DEP_1)
	v_lshl_add_u32 v92, v92, 4, v184
	v_add_f64_e32 v[2:3], v[109:110], v[2:3]
	v_add_f64_e32 v[0:1], v[135:136], v[0:1]
	v_add_f64_e32 v[76:77], v[133:134], v[139:140]
	ds_store_b128 v92, v[68:71] offset:112
	ds_store_b128 v92, v[72:75] offset:128
	;; [unrolled: 1-line block ×9, first 2 shown]
	ds_store_b128 v92, v[0:3]
	ds_store_b128 v92, v[76:79] offset:160
.LBB0_17:
	s_wait_alu 0xfffe
	s_or_b32 exec_lo, exec_lo, s1
	global_wb scope:SCOPE_SE
	s_wait_dscnt 0x0
	s_barrier_signal -1
	s_barrier_wait -1
	global_inv scope:SCOPE_SE
	ds_load_b128 v[0:3], v187 offset:528
	ds_load_b128 v[4:7], v187 offset:1056
	;; [unrolled: 1-line block ×6, first 2 shown]
	s_mov_b32 s2, 0x37e14327
	s_mov_b32 s3, 0x3fe948f6
	;; [unrolled: 1-line block ×10, first 2 shown]
	s_wait_dscnt 0x5
	v_mul_f64_e32 v[80:81], v[14:15], v[2:3]
	v_mul_f64_e32 v[14:15], v[14:15], v[0:1]
	s_wait_dscnt 0x4
	v_mul_f64_e32 v[82:83], v[10:11], v[6:7]
	v_mul_f64_e32 v[10:11], v[10:11], v[4:5]
	;; [unrolled: 3-line block ×6, first 2 shown]
	v_fma_f64 v[0:1], v[12:13], v[0:1], v[80:81]
	v_fma_f64 v[2:3], v[12:13], v[2:3], -v[14:15]
	v_fma_f64 v[4:5], v[8:9], v[4:5], v[82:83]
	v_fma_f64 v[6:7], v[8:9], v[6:7], -v[10:11]
	;; [unrolled: 2-line block ×6, first 2 shown]
	v_add_f64_e32 v[30:31], v[0:1], v[8:9]
	v_add_f64_e32 v[34:35], v[2:3], v[10:11]
	;; [unrolled: 1-line block ×4, first 2 shown]
	v_add_f64_e64 v[4:5], v[4:5], -v[12:13]
	v_add_f64_e64 v[6:7], v[6:7], -v[14:15]
	v_add_f64_e32 v[56:57], v[24:25], v[32:33]
	v_add_f64_e32 v[58:59], v[26:27], v[28:29]
	v_add_f64_e64 v[12:13], v[32:33], -v[24:25]
	v_add_f64_e64 v[14:15], v[28:29], -v[26:27]
	;; [unrolled: 1-line block ×4, first 2 shown]
	v_add_f64_e32 v[0:1], v[36:37], v[30:31]
	v_add_f64_e32 v[2:3], v[38:39], v[34:35]
	v_add_f64_e64 v[24:25], v[30:31], -v[56:57]
	v_add_f64_e64 v[26:27], v[34:35], -v[58:59]
	;; [unrolled: 1-line block ×10, first 2 shown]
	v_add_f64_e32 v[36:37], v[12:13], v[4:5]
	v_add_f64_e32 v[38:39], v[14:15], v[6:7]
	v_add_f64_e64 v[12:13], v[8:9], -v[12:13]
	v_add_f64_e64 v[14:15], v[10:11], -v[14:15]
	v_add_f64_e32 v[56:57], v[56:57], v[0:1]
	v_add_f64_e32 v[58:59], v[58:59], v[2:3]
	ds_load_b128 v[0:3], v187
	global_wb scope:SCOPE_SE
	s_wait_dscnt 0x0
	s_wait_alu 0xfffe
	v_mul_f64_e32 v[24:25], s[2:3], v[24:25]
	v_mul_f64_e32 v[26:27], s[2:3], v[26:27]
	s_mov_b32 s2, 0x429ad128
	v_mul_f64_e32 v[76:77], s[10:11], v[28:29]
	v_mul_f64_e32 v[78:79], s[10:11], v[32:33]
	;; [unrolled: 1-line block ×4, first 2 shown]
	s_mov_b32 s3, 0xbfebfeb5
	s_mov_b32 s14, 0xaaaaaaaa
	s_wait_alu 0xfffe
	v_mul_f64_e32 v[80:81], s[2:3], v[64:65]
	v_mul_f64_e32 v[82:83], s[2:3], v[66:67]
	s_mov_b32 s15, 0xbff2aaaa
	s_barrier_signal -1
	s_barrier_wait -1
	global_inv scope:SCOPE_SE
	v_add_f64_e32 v[4:5], v[0:1], v[56:57]
	v_add_f64_e32 v[6:7], v[2:3], v[58:59]
	;; [unrolled: 1-line block ×4, first 2 shown]
	v_fma_f64 v[8:9], v[28:29], s[10:11], v[24:25]
	v_fma_f64 v[10:11], v[32:33], s[10:11], v[26:27]
	v_fma_f64 v[28:29], v[30:31], s[16:17], -v[76:77]
	v_fma_f64 v[32:33], v[34:35], s[16:17], -v[78:79]
	s_mov_b32 s17, 0xbfe77f67
	v_fma_f64 v[36:37], v[12:13], s[18:19], v[60:61]
	v_fma_f64 v[38:39], v[14:15], s[18:19], v[62:63]
	s_mov_b32 s19, 0x3fd5d0dc
	v_fma_f64 v[60:61], v[64:65], s[2:3], -v[60:61]
	v_fma_f64 v[62:63], v[66:67], s[2:3], -v[62:63]
	s_wait_alu 0xfffe
	v_fma_f64 v[12:13], v[12:13], s[18:19], -v[80:81]
	v_fma_f64 v[14:15], v[14:15], s[18:19], -v[82:83]
	;; [unrolled: 1-line block ×4, first 2 shown]
	s_mov_b32 s2, 0x37c3f68c
	s_mov_b32 s3, 0xbfdc38aa
	v_fma_f64 v[56:57], v[56:57], s[14:15], v[4:5]
	v_fma_f64 v[58:59], v[58:59], s[14:15], v[6:7]
	s_wait_alu 0xfffe
	v_fma_f64 v[36:37], v[0:1], s[2:3], v[36:37]
	v_fma_f64 v[38:39], v[2:3], s[2:3], v[38:39]
	;; [unrolled: 1-line block ×6, first 2 shown]
	v_add_f64_e32 v[60:61], v[8:9], v[56:57]
	v_add_f64_e32 v[62:63], v[10:11], v[58:59]
	;; [unrolled: 1-line block ×7, first 2 shown]
	v_add_f64_e64 v[10:11], v[62:63], -v[36:37]
	v_add_f64_e32 v[12:13], v[2:3], v[64:65]
	v_add_f64_e64 v[14:15], v[66:67], -v[0:1]
	v_add_f64_e64 v[24:25], v[28:29], -v[34:35]
	v_add_f64_e32 v[26:27], v[30:31], v[32:33]
	v_add_f64_e32 v[28:29], v[34:35], v[28:29]
	v_add_f64_e64 v[30:31], v[32:33], -v[30:31]
	v_add_f64_e64 v[32:33], v[64:65], -v[2:3]
	v_add_f64_e32 v[34:35], v[0:1], v[66:67]
	v_add_f64_e64 v[0:1], v[60:61], -v[38:39]
	v_add_f64_e32 v[2:3], v[36:37], v[62:63]
	v_add_nc_u32_e32 v36, 0x210, v189
	ds_store_b128 v188, v[4:7]
	ds_store_b128 v188, v[8:11] offset:176
	ds_store_b128 v188, v[12:15] offset:352
	;; [unrolled: 1-line block ×6, first 2 shown]
	global_wb scope:SCOPE_SE
	s_wait_dscnt 0x0
	s_barrier_signal -1
	s_barrier_wait -1
	global_inv scope:SCOPE_SE
	ds_load_b128 v[8:11], v187
	ds_load_b128 v[4:7], v187 offset:528
	ds_load_b128 v[28:31], v187 offset:1232
	;; [unrolled: 1-line block ×5, first 2 shown]
	s_and_saveexec_b32 s1, s0
	s_cbranch_execz .LBB0_19
; %bb.18:
	ds_load_b128 v[0:3], v187 offset:1056
	ds_load_b128 v[68:71], v187 offset:2288
	;; [unrolled: 1-line block ×3, first 2 shown]
.LBB0_19:
	s_wait_alu 0xfffe
	s_or_b32 exec_lo, exec_lo, s1
	s_wait_dscnt 0x3
	v_mul_f64_e32 v[37:38], v[46:47], v[30:31]
	s_wait_dscnt 0x1
	v_mul_f64_e32 v[56:57], v[42:43], v[34:35]
	v_mul_f64_e32 v[46:47], v[46:47], v[28:29]
	;; [unrolled: 1-line block ×4, first 2 shown]
	s_wait_dscnt 0x0
	v_mul_f64_e32 v[60:61], v[50:51], v[26:27]
	v_mul_f64_e32 v[54:55], v[54:55], v[12:13]
	;; [unrolled: 1-line block ×3, first 2 shown]
	s_mov_b32 s2, 0xe8584caa
	s_mov_b32 s3, 0xbfebb67a
	;; [unrolled: 1-line block ×3, first 2 shown]
	s_wait_alu 0xfffe
	s_mov_b32 s10, s2
	v_fma_f64 v[28:29], v[44:45], v[28:29], v[37:38]
	v_fma_f64 v[32:33], v[40:41], v[32:33], v[56:57]
	v_fma_f64 v[30:31], v[44:45], v[30:31], -v[46:47]
	v_fma_f64 v[34:35], v[40:41], v[34:35], -v[42:43]
	v_fma_f64 v[12:13], v[52:53], v[12:13], v[58:59]
	v_fma_f64 v[24:25], v[48:49], v[24:25], v[60:61]
	v_fma_f64 v[14:15], v[52:53], v[14:15], -v[54:55]
	v_fma_f64 v[26:27], v[48:49], v[26:27], -v[50:51]
	v_add_f64_e32 v[45:46], v[8:9], v[28:29]
	v_add_f64_e32 v[37:38], v[28:29], v[32:33]
	v_add_f64_e64 v[53:54], v[28:29], -v[32:33]
	v_add_f64_e32 v[39:40], v[30:31], v[34:35]
	v_add_f64_e64 v[47:48], v[30:31], -v[34:35]
	v_add_f64_e32 v[41:42], v[12:13], v[24:25]
	v_add_f64_e32 v[30:31], v[10:11], v[30:31]
	;; [unrolled: 1-line block ×5, first 2 shown]
	v_add_f64_e64 v[14:15], v[14:15], -v[26:27]
	v_add_f64_e64 v[55:56], v[12:13], -v[24:25]
	v_fma_f64 v[37:38], v[37:38], -0.5, v[8:9]
	v_fma_f64 v[39:40], v[39:40], -0.5, v[10:11]
	v_fma_f64 v[41:42], v[41:42], -0.5, v[4:5]
	v_lshl_add_u32 v4, v183, 4, v182
	v_fma_f64 v[43:44], v[43:44], -0.5, v[6:7]
	v_add_f64_e32 v[5:6], v[45:46], v[32:33]
	v_add_f64_e32 v[7:8], v[30:31], v[34:35]
	;; [unrolled: 1-line block ×4, first 2 shown]
	v_fma_f64 v[24:25], v[47:48], s[2:3], v[37:38]
	s_wait_alu 0xfffe
	v_fma_f64 v[28:29], v[47:48], s[10:11], v[37:38]
	v_fma_f64 v[26:27], v[53:54], s[10:11], v[39:40]
	;; [unrolled: 1-line block ×7, first 2 shown]
	ds_store_b128 v186, v[5:8]
	ds_store_b128 v186, v[9:12] offset:528
	ds_store_b128 v186, v[24:27] offset:1232
	;; [unrolled: 1-line block ×5, first 2 shown]
	s_and_saveexec_b32 s1, s0
	s_cbranch_execz .LBB0_21
; %bb.20:
	v_mul_f64_e32 v[5:6], v[22:23], v[68:69]
	v_mul_f64_e32 v[7:8], v[18:19], v[72:73]
	;; [unrolled: 1-line block ×4, first 2 shown]
	s_delay_alu instid0(VALU_DEP_4) | instskip(NEXT) | instid1(VALU_DEP_4)
	v_fma_f64 v[5:6], v[20:21], v[70:71], -v[5:6]
	v_fma_f64 v[7:8], v[16:17], v[74:75], -v[7:8]
	s_delay_alu instid0(VALU_DEP_4) | instskip(NEXT) | instid1(VALU_DEP_4)
	v_fma_f64 v[9:10], v[20:21], v[68:69], v[9:10]
	v_fma_f64 v[11:12], v[16:17], v[72:73], v[11:12]
	s_delay_alu instid0(VALU_DEP_4) | instskip(NEXT) | instid1(VALU_DEP_4)
	v_add_f64_e32 v[19:20], v[2:3], v[5:6]
	v_add_f64_e32 v[13:14], v[5:6], v[7:8]
	v_add_f64_e64 v[5:6], v[5:6], -v[7:8]
	s_delay_alu instid0(VALU_DEP_4)
	v_add_f64_e32 v[15:16], v[9:10], v[11:12]
	v_add_f64_e64 v[17:18], v[9:10], -v[11:12]
	v_add_f64_e32 v[9:10], v[0:1], v[9:10]
	v_fma_f64 v[13:14], v[13:14], -0.5, v[2:3]
	v_add_f64_e32 v[2:3], v[19:20], v[7:8]
	v_fma_f64 v[15:16], v[15:16], -0.5, v[0:1]
	s_delay_alu instid0(VALU_DEP_4) | instskip(NEXT) | instid1(VALU_DEP_4)
	v_add_f64_e32 v[0:1], v[9:10], v[11:12]
	v_fma_f64 v[11:12], v[17:18], s[10:11], v[13:14]
	v_fma_f64 v[7:8], v[17:18], s[2:3], v[13:14]
	s_delay_alu instid0(VALU_DEP_4)
	v_fma_f64 v[9:10], v[5:6], s[2:3], v[15:16]
	v_fma_f64 v[5:6], v[5:6], s[10:11], v[15:16]
	ds_store_b128 v4, v[0:3] offset:1056
	ds_store_b128 v4, v[9:12] offset:2288
	;; [unrolled: 1-line block ×3, first 2 shown]
.LBB0_21:
	s_wait_alu 0xfffe
	s_or_b32 exec_lo, exec_lo, s1
	global_wb scope:SCOPE_SE
	s_wait_dscnt 0x0
	s_barrier_signal -1
	s_barrier_wait -1
	global_inv scope:SCOPE_SE
	s_and_b32 exec_lo, exec_lo, vcc_lo
	s_cbranch_execz .LBB0_23
; %bb.22:
	s_clause 0xa
	global_load_b128 v[0:3], v182, s[12:13]
	global_load_b128 v[5:8], v182, s[12:13] offset:336
	global_load_b128 v[9:12], v182, s[12:13] offset:672
	;; [unrolled: 1-line block ×10, first 2 shown]
	v_mad_co_u64_u32 v[89:90], null, s6, v100, 0
	v_mad_co_u64_u32 v[91:92], null, s4, v181, 0
	ds_load_b128 v[45:48], v186
	ds_load_b128 v[49:52], v4 offset:336
	ds_load_b128 v[53:56], v4 offset:672
	;; [unrolled: 1-line block ×3, first 2 shown]
	s_mul_u64 s[0:1], s[4:5], 0x150
	s_mov_b32 s2, 0x4046ed29
	v_mov_b32_e32 v61, v90
	s_mov_b32 s3, 0x3f71bb4a
	v_mov_b32_e32 v69, v92
	s_delay_alu instid0(VALU_DEP_2)
	v_mad_co_u64_u32 v[77:78], null, s7, v100, v[61:62]
	ds_load_b128 v[61:64], v4 offset:1344
	ds_load_b128 v[65:68], v4 offset:1680
	v_mad_co_u64_u32 v[92:93], null, s5, v181, v[69:70]
	ds_load_b128 v[69:72], v4 offset:2016
	ds_load_b128 v[73:76], v4 offset:2352
	v_mov_b32_e32 v90, v77
	ds_load_b128 v[77:80], v4 offset:2688
	ds_load_b128 v[81:84], v4 offset:3024
	;; [unrolled: 1-line block ×3, first 2 shown]
	v_lshlrev_b64_e32 v[91:92], 4, v[91:92]
	v_lshlrev_b64_e32 v[89:90], 4, v[89:90]
	s_delay_alu instid0(VALU_DEP_1) | instskip(NEXT) | instid1(VALU_DEP_2)
	v_add_co_u32 v4, vcc_lo, s8, v89
	v_add_co_ci_u32_e32 v90, vcc_lo, s9, v90, vcc_lo
	s_delay_alu instid0(VALU_DEP_2) | instskip(SKIP_1) | instid1(VALU_DEP_2)
	v_add_co_u32 v89, vcc_lo, v4, v91
	s_wait_alu 0xfffd
	v_add_co_ci_u32_e32 v90, vcc_lo, v90, v92, vcc_lo
	s_wait_alu 0xfffe
	s_delay_alu instid0(VALU_DEP_2) | instskip(SKIP_1) | instid1(VALU_DEP_2)
	v_add_co_u32 v91, vcc_lo, v89, s0
	s_wait_alu 0xfffd
	v_add_co_ci_u32_e32 v92, vcc_lo, s1, v90, vcc_lo
	s_wait_loadcnt_dscnt 0xa0a
	v_mul_f64_e32 v[93:94], v[47:48], v[2:3]
	v_mul_f64_e32 v[2:3], v[45:46], v[2:3]
	s_wait_loadcnt_dscnt 0x909
	v_mul_f64_e32 v[95:96], v[51:52], v[7:8]
	v_mul_f64_e32 v[7:8], v[49:50], v[7:8]
	;; [unrolled: 3-line block ×11, first 2 shown]
	v_fma_f64 v[45:46], v[45:46], v[0:1], v[93:94]
	v_fma_f64 v[2:3], v[0:1], v[47:48], -v[2:3]
	v_fma_f64 v[47:48], v[49:50], v[5:6], v[95:96]
	v_fma_f64 v[6:7], v[5:6], v[51:52], -v[7:8]
	;; [unrolled: 2-line block ×11, first 2 shown]
	v_add_co_u32 v67, vcc_lo, v91, s0
	s_wait_alu 0xfffd
	v_add_co_ci_u32_e32 v68, vcc_lo, s1, v92, vcc_lo
	s_delay_alu instid0(VALU_DEP_2) | instskip(SKIP_1) | instid1(VALU_DEP_2)
	v_add_co_u32 v69, vcc_lo, v67, s0
	s_wait_alu 0xfffd
	v_add_co_ci_u32_e32 v70, vcc_lo, s1, v68, vcc_lo
	s_delay_alu instid0(VALU_DEP_2) | instskip(SKIP_1) | instid1(VALU_DEP_2)
	v_add_co_u32 v71, vcc_lo, v69, s0
	s_wait_alu 0xfffd
	v_add_co_ci_u32_e32 v72, vcc_lo, s1, v70, vcc_lo
	s_delay_alu instid0(VALU_DEP_2)
	v_add_co_u32 v44, vcc_lo, v71, s0
	v_mul_f64_e32 v[0:1], s[2:3], v[45:46]
	v_mul_f64_e32 v[2:3], s[2:3], v[2:3]
	;; [unrolled: 1-line block ×22, first 2 shown]
	s_wait_alu 0xfffd
	v_add_co_ci_u32_e32 v45, vcc_lo, s1, v72, vcc_lo
	v_add_co_u32 v46, vcc_lo, v44, s0
	s_wait_alu 0xfffd
	s_delay_alu instid0(VALU_DEP_2) | instskip(NEXT) | instid1(VALU_DEP_2)
	v_add_co_ci_u32_e32 v47, vcc_lo, s1, v45, vcc_lo
	v_add_co_u32 v48, vcc_lo, v46, s0
	s_wait_alu 0xfffd
	s_delay_alu instid0(VALU_DEP_2) | instskip(NEXT) | instid1(VALU_DEP_2)
	;; [unrolled: 4-line block ×4, first 2 shown]
	v_add_co_ci_u32_e32 v53, vcc_lo, s1, v51, vcc_lo
	v_add_co_u32 v54, vcc_lo, v52, s0
	s_wait_alu 0xfffd
	s_delay_alu instid0(VALU_DEP_2)
	v_add_co_ci_u32_e32 v55, vcc_lo, s1, v53, vcc_lo
	s_clause 0x4
	global_store_b128 v[89:90], v[0:3], off
	global_store_b128 v[91:92], v[4:7], off
	;; [unrolled: 1-line block ×11, first 2 shown]
.LBB0_23:
	s_nop 0
	s_sendmsg sendmsg(MSG_DEALLOC_VGPRS)
	s_endpgm
	.section	.rodata,"a",@progbits
	.p2align	6, 0x0
	.amdhsa_kernel bluestein_single_fwd_len231_dim1_dp_op_CI_CI
		.amdhsa_group_segment_fixed_size 25872
		.amdhsa_private_segment_fixed_size 0
		.amdhsa_kernarg_size 104
		.amdhsa_user_sgpr_count 2
		.amdhsa_user_sgpr_dispatch_ptr 0
		.amdhsa_user_sgpr_queue_ptr 0
		.amdhsa_user_sgpr_kernarg_segment_ptr 1
		.amdhsa_user_sgpr_dispatch_id 0
		.amdhsa_user_sgpr_private_segment_size 0
		.amdhsa_wavefront_size32 1
		.amdhsa_uses_dynamic_stack 0
		.amdhsa_enable_private_segment 0
		.amdhsa_system_sgpr_workgroup_id_x 1
		.amdhsa_system_sgpr_workgroup_id_y 0
		.amdhsa_system_sgpr_workgroup_id_z 0
		.amdhsa_system_sgpr_workgroup_info 0
		.amdhsa_system_vgpr_workitem_id 0
		.amdhsa_next_free_vgpr 250
		.amdhsa_next_free_sgpr 38
		.amdhsa_reserve_vcc 1
		.amdhsa_float_round_mode_32 0
		.amdhsa_float_round_mode_16_64 0
		.amdhsa_float_denorm_mode_32 3
		.amdhsa_float_denorm_mode_16_64 3
		.amdhsa_fp16_overflow 0
		.amdhsa_workgroup_processor_mode 1
		.amdhsa_memory_ordered 1
		.amdhsa_forward_progress 0
		.amdhsa_round_robin_scheduling 0
		.amdhsa_exception_fp_ieee_invalid_op 0
		.amdhsa_exception_fp_denorm_src 0
		.amdhsa_exception_fp_ieee_div_zero 0
		.amdhsa_exception_fp_ieee_overflow 0
		.amdhsa_exception_fp_ieee_underflow 0
		.amdhsa_exception_fp_ieee_inexact 0
		.amdhsa_exception_int_div_zero 0
	.end_amdhsa_kernel
	.text
.Lfunc_end0:
	.size	bluestein_single_fwd_len231_dim1_dp_op_CI_CI, .Lfunc_end0-bluestein_single_fwd_len231_dim1_dp_op_CI_CI
                                        ; -- End function
	.section	.AMDGPU.csdata,"",@progbits
; Kernel info:
; codeLenInByte = 11304
; NumSgprs: 40
; NumVgprs: 250
; ScratchSize: 0
; MemoryBound: 0
; FloatMode: 240
; IeeeMode: 1
; LDSByteSize: 25872 bytes/workgroup (compile time only)
; SGPRBlocks: 4
; VGPRBlocks: 31
; NumSGPRsForWavesPerEU: 40
; NumVGPRsForWavesPerEU: 250
; Occupancy: 5
; WaveLimiterHint : 1
; COMPUTE_PGM_RSRC2:SCRATCH_EN: 0
; COMPUTE_PGM_RSRC2:USER_SGPR: 2
; COMPUTE_PGM_RSRC2:TRAP_HANDLER: 0
; COMPUTE_PGM_RSRC2:TGID_X_EN: 1
; COMPUTE_PGM_RSRC2:TGID_Y_EN: 0
; COMPUTE_PGM_RSRC2:TGID_Z_EN: 0
; COMPUTE_PGM_RSRC2:TIDIG_COMP_CNT: 0
	.text
	.p2alignl 7, 3214868480
	.fill 96, 4, 3214868480
	.type	__hip_cuid_d6f2087d1af7d577,@object ; @__hip_cuid_d6f2087d1af7d577
	.section	.bss,"aw",@nobits
	.globl	__hip_cuid_d6f2087d1af7d577
__hip_cuid_d6f2087d1af7d577:
	.byte	0                               ; 0x0
	.size	__hip_cuid_d6f2087d1af7d577, 1

	.ident	"AMD clang version 19.0.0git (https://github.com/RadeonOpenCompute/llvm-project roc-6.4.0 25133 c7fe45cf4b819c5991fe208aaa96edf142730f1d)"
	.section	".note.GNU-stack","",@progbits
	.addrsig
	.addrsig_sym __hip_cuid_d6f2087d1af7d577
	.amdgpu_metadata
---
amdhsa.kernels:
  - .args:
      - .actual_access:  read_only
        .address_space:  global
        .offset:         0
        .size:           8
        .value_kind:     global_buffer
      - .actual_access:  read_only
        .address_space:  global
        .offset:         8
        .size:           8
        .value_kind:     global_buffer
      - .actual_access:  read_only
        .address_space:  global
        .offset:         16
        .size:           8
        .value_kind:     global_buffer
      - .actual_access:  read_only
        .address_space:  global
        .offset:         24
        .size:           8
        .value_kind:     global_buffer
      - .actual_access:  read_only
        .address_space:  global
        .offset:         32
        .size:           8
        .value_kind:     global_buffer
      - .offset:         40
        .size:           8
        .value_kind:     by_value
      - .address_space:  global
        .offset:         48
        .size:           8
        .value_kind:     global_buffer
      - .address_space:  global
        .offset:         56
        .size:           8
        .value_kind:     global_buffer
      - .address_space:  global
        .offset:         64
        .size:           8
        .value_kind:     global_buffer
      - .address_space:  global
        .offset:         72
        .size:           8
        .value_kind:     global_buffer
      - .offset:         80
        .size:           4
        .value_kind:     by_value
      - .address_space:  global
        .offset:         88
        .size:           8
        .value_kind:     global_buffer
      - .address_space:  global
        .offset:         96
        .size:           8
        .value_kind:     global_buffer
    .group_segment_fixed_size: 25872
    .kernarg_segment_align: 8
    .kernarg_segment_size: 104
    .language:       OpenCL C
    .language_version:
      - 2
      - 0
    .max_flat_workgroup_size: 231
    .name:           bluestein_single_fwd_len231_dim1_dp_op_CI_CI
    .private_segment_fixed_size: 0
    .sgpr_count:     40
    .sgpr_spill_count: 0
    .symbol:         bluestein_single_fwd_len231_dim1_dp_op_CI_CI.kd
    .uniform_work_group_size: 1
    .uses_dynamic_stack: false
    .vgpr_count:     250
    .vgpr_spill_count: 0
    .wavefront_size: 32
    .workgroup_processor_mode: 1
amdhsa.target:   amdgcn-amd-amdhsa--gfx1201
amdhsa.version:
  - 1
  - 2
...

	.end_amdgpu_metadata
